;; amdgpu-corpus repo=ROCm/rocFFT kind=compiled arch=gfx950 opt=O3
	.text
	.amdgcn_target "amdgcn-amd-amdhsa--gfx950"
	.amdhsa_code_object_version 6
	.protected	fft_rtc_back_len1848_factors_3_11_7_4_2_wgs_231_tpt_231_halfLds_sp_ip_CI_unitstride_sbrr_R2C_dirReg ; -- Begin function fft_rtc_back_len1848_factors_3_11_7_4_2_wgs_231_tpt_231_halfLds_sp_ip_CI_unitstride_sbrr_R2C_dirReg
	.globl	fft_rtc_back_len1848_factors_3_11_7_4_2_wgs_231_tpt_231_halfLds_sp_ip_CI_unitstride_sbrr_R2C_dirReg
	.p2align	8
	.type	fft_rtc_back_len1848_factors_3_11_7_4_2_wgs_231_tpt_231_halfLds_sp_ip_CI_unitstride_sbrr_R2C_dirReg,@function
fft_rtc_back_len1848_factors_3_11_7_4_2_wgs_231_tpt_231_halfLds_sp_ip_CI_unitstride_sbrr_R2C_dirReg: ; @fft_rtc_back_len1848_factors_3_11_7_4_2_wgs_231_tpt_231_halfLds_sp_ip_CI_unitstride_sbrr_R2C_dirReg
; %bb.0:
	s_load_dwordx2 s[8:9], s[0:1], 0x50
	s_load_dwordx4 s[4:7], s[0:1], 0x0
	s_load_dwordx2 s[10:11], s[0:1], 0x18
	v_mul_u32_u24_e32 v1, 0x11c, v0
	v_add_u32_sdwa v6, s2, v1 dst_sel:DWORD dst_unused:UNUSED_PAD src0_sel:DWORD src1_sel:WORD_1
	v_mov_b32_e32 v4, 0
	s_waitcnt lgkmcnt(0)
	v_cmp_lt_u64_e64 s[2:3], s[6:7], 2
	v_mov_b32_e32 v7, v4
	s_and_b64 vcc, exec, s[2:3]
	v_mov_b64_e32 v[2:3], 0
	s_cbranch_vccnz .LBB0_8
; %bb.1:
	s_load_dwordx2 s[2:3], s[0:1], 0x10
	s_add_u32 s12, s10, 8
	s_addc_u32 s13, s11, 0
	s_mov_b64 s[14:15], 1
	v_mov_b64_e32 v[2:3], 0
	s_waitcnt lgkmcnt(0)
	s_add_u32 s16, s2, 8
	s_addc_u32 s17, s3, 0
.LBB0_2:                                ; =>This Inner Loop Header: Depth=1
	s_load_dwordx2 s[18:19], s[16:17], 0x0
                                        ; implicit-def: $vgpr8_vgpr9
	s_waitcnt lgkmcnt(0)
	v_or_b32_e32 v5, s19, v7
	v_cmp_ne_u64_e32 vcc, 0, v[4:5]
	s_and_saveexec_b64 s[2:3], vcc
	s_xor_b64 s[20:21], exec, s[2:3]
	s_cbranch_execz .LBB0_4
; %bb.3:                                ;   in Loop: Header=BB0_2 Depth=1
	v_cvt_f32_u32_e32 v1, s18
	v_cvt_f32_u32_e32 v5, s19
	s_sub_u32 s2, 0, s18
	s_subb_u32 s3, 0, s19
	v_fmac_f32_e32 v1, 0x4f800000, v5
	v_rcp_f32_e32 v1, v1
	s_nop 0
	v_mul_f32_e32 v1, 0x5f7ffffc, v1
	v_mul_f32_e32 v5, 0x2f800000, v1
	v_trunc_f32_e32 v5, v5
	v_fmac_f32_e32 v1, 0xcf800000, v5
	v_cvt_u32_f32_e32 v5, v5
	v_cvt_u32_f32_e32 v1, v1
	v_mul_lo_u32 v8, s2, v5
	v_mul_hi_u32 v10, s2, v1
	v_mul_lo_u32 v9, s3, v1
	v_add_u32_e32 v10, v10, v8
	v_mul_lo_u32 v12, s2, v1
	v_add_u32_e32 v13, v10, v9
	v_mul_hi_u32 v8, v1, v12
	v_mul_hi_u32 v11, v1, v13
	v_mul_lo_u32 v10, v1, v13
	v_mov_b32_e32 v9, v4
	v_lshl_add_u64 v[8:9], v[8:9], 0, v[10:11]
	v_mul_hi_u32 v11, v5, v12
	v_mul_lo_u32 v12, v5, v12
	v_add_co_u32_e32 v8, vcc, v8, v12
	v_mul_hi_u32 v10, v5, v13
	s_nop 0
	v_addc_co_u32_e32 v8, vcc, v9, v11, vcc
	v_mov_b32_e32 v9, v4
	s_nop 0
	v_addc_co_u32_e32 v11, vcc, 0, v10, vcc
	v_mul_lo_u32 v10, v5, v13
	v_lshl_add_u64 v[8:9], v[8:9], 0, v[10:11]
	v_add_co_u32_e32 v1, vcc, v1, v8
	v_mul_lo_u32 v10, s2, v1
	s_nop 0
	v_addc_co_u32_e32 v5, vcc, v5, v9, vcc
	v_mul_lo_u32 v8, s2, v5
	v_mul_hi_u32 v9, s2, v1
	v_add_u32_e32 v8, v9, v8
	v_mul_lo_u32 v9, s3, v1
	v_add_u32_e32 v12, v8, v9
	v_mul_hi_u32 v14, v5, v10
	v_mul_lo_u32 v15, v5, v10
	v_mul_hi_u32 v9, v1, v12
	v_mul_lo_u32 v8, v1, v12
	v_mul_hi_u32 v10, v1, v10
	v_mov_b32_e32 v11, v4
	v_lshl_add_u64 v[8:9], v[10:11], 0, v[8:9]
	v_add_co_u32_e32 v8, vcc, v8, v15
	v_mul_hi_u32 v13, v5, v12
	s_nop 0
	v_addc_co_u32_e32 v8, vcc, v9, v14, vcc
	v_mul_lo_u32 v10, v5, v12
	s_nop 0
	v_addc_co_u32_e32 v11, vcc, 0, v13, vcc
	v_mov_b32_e32 v9, v4
	v_lshl_add_u64 v[8:9], v[8:9], 0, v[10:11]
	v_add_co_u32_e32 v1, vcc, v1, v8
	v_mul_hi_u32 v10, v6, v1
	s_nop 0
	v_addc_co_u32_e32 v5, vcc, v5, v9, vcc
	v_mad_u64_u32 v[8:9], s[2:3], v6, v5, 0
	v_mov_b32_e32 v11, v4
	v_lshl_add_u64 v[8:9], v[10:11], 0, v[8:9]
	v_mad_u64_u32 v[12:13], s[2:3], v7, v1, 0
	v_add_co_u32_e32 v1, vcc, v8, v12
	v_mad_u64_u32 v[10:11], s[2:3], v7, v5, 0
	s_nop 0
	v_addc_co_u32_e32 v8, vcc, v9, v13, vcc
	v_mov_b32_e32 v9, v4
	s_nop 0
	v_addc_co_u32_e32 v11, vcc, 0, v11, vcc
	v_lshl_add_u64 v[8:9], v[8:9], 0, v[10:11]
	v_mul_lo_u32 v1, s19, v8
	v_mul_lo_u32 v5, s18, v9
	v_mad_u64_u32 v[10:11], s[2:3], s18, v8, 0
	v_add3_u32 v1, v11, v5, v1
	v_sub_u32_e32 v5, v7, v1
	v_mov_b32_e32 v11, s19
	v_sub_co_u32_e32 v14, vcc, v6, v10
	v_lshl_add_u64 v[12:13], v[8:9], 0, 1
	s_nop 0
	v_subb_co_u32_e64 v5, s[2:3], v5, v11, vcc
	v_subrev_co_u32_e64 v10, s[2:3], s18, v14
	v_subb_co_u32_e32 v1, vcc, v7, v1, vcc
	s_nop 0
	v_subbrev_co_u32_e64 v5, s[2:3], 0, v5, s[2:3]
	v_cmp_le_u32_e64 s[2:3], s19, v5
	v_cmp_le_u32_e32 vcc, s19, v1
	s_nop 0
	v_cndmask_b32_e64 v11, 0, -1, s[2:3]
	v_cmp_le_u32_e64 s[2:3], s18, v10
	s_nop 1
	v_cndmask_b32_e64 v10, 0, -1, s[2:3]
	v_cmp_eq_u32_e64 s[2:3], s19, v5
	s_nop 1
	v_cndmask_b32_e64 v5, v11, v10, s[2:3]
	v_lshl_add_u64 v[10:11], v[8:9], 0, 2
	v_cmp_ne_u32_e64 s[2:3], 0, v5
	s_nop 1
	v_cndmask_b32_e64 v5, v13, v11, s[2:3]
	v_cndmask_b32_e64 v11, 0, -1, vcc
	v_cmp_le_u32_e32 vcc, s18, v14
	s_nop 1
	v_cndmask_b32_e64 v13, 0, -1, vcc
	v_cmp_eq_u32_e32 vcc, s19, v1
	s_nop 1
	v_cndmask_b32_e32 v1, v11, v13, vcc
	v_cmp_ne_u32_e32 vcc, 0, v1
	v_cndmask_b32_e64 v1, v12, v10, s[2:3]
	s_nop 0
	v_cndmask_b32_e32 v9, v9, v5, vcc
	v_cndmask_b32_e32 v8, v8, v1, vcc
.LBB0_4:                                ;   in Loop: Header=BB0_2 Depth=1
	s_andn2_saveexec_b64 s[2:3], s[20:21]
	s_cbranch_execz .LBB0_6
; %bb.5:                                ;   in Loop: Header=BB0_2 Depth=1
	v_cvt_f32_u32_e32 v1, s18
	s_sub_i32 s20, 0, s18
	v_rcp_iflag_f32_e32 v1, v1
	s_nop 0
	v_mul_f32_e32 v1, 0x4f7ffffe, v1
	v_cvt_u32_f32_e32 v1, v1
	v_mul_lo_u32 v5, s20, v1
	v_mul_hi_u32 v5, v1, v5
	v_add_u32_e32 v1, v1, v5
	v_mul_hi_u32 v1, v6, v1
	v_mul_lo_u32 v5, v1, s18
	v_sub_u32_e32 v5, v6, v5
	v_add_u32_e32 v8, 1, v1
	v_subrev_u32_e32 v9, s18, v5
	v_cmp_le_u32_e32 vcc, s18, v5
	s_nop 1
	v_cndmask_b32_e32 v5, v5, v9, vcc
	v_cndmask_b32_e32 v1, v1, v8, vcc
	v_add_u32_e32 v8, 1, v1
	v_cmp_le_u32_e32 vcc, s18, v5
	v_mov_b32_e32 v9, v4
	s_nop 0
	v_cndmask_b32_e32 v8, v1, v8, vcc
.LBB0_6:                                ;   in Loop: Header=BB0_2 Depth=1
	s_or_b64 exec, exec, s[2:3]
	v_mad_u64_u32 v[10:11], s[2:3], v8, s18, 0
	s_load_dwordx2 s[2:3], s[12:13], 0x0
	v_mul_lo_u32 v1, v9, s18
	v_mul_lo_u32 v5, v8, s19
	v_add3_u32 v1, v11, v5, v1
	v_sub_co_u32_e32 v5, vcc, v6, v10
	s_add_u32 s14, s14, 1
	s_nop 0
	v_subb_co_u32_e32 v1, vcc, v7, v1, vcc
	s_addc_u32 s15, s15, 0
	s_waitcnt lgkmcnt(0)
	v_mul_lo_u32 v1, s2, v1
	v_mul_lo_u32 v6, s3, v5
	v_mad_u64_u32 v[2:3], s[2:3], s2, v5, v[2:3]
	s_add_u32 s12, s12, 8
	v_add3_u32 v3, v6, v3, v1
	s_addc_u32 s13, s13, 0
	v_mov_b64_e32 v[6:7], s[6:7]
	s_add_u32 s16, s16, 8
	v_cmp_ge_u64_e32 vcc, s[14:15], v[6:7]
	s_addc_u32 s17, s17, 0
	s_cbranch_vccnz .LBB0_9
; %bb.7:                                ;   in Loop: Header=BB0_2 Depth=1
	v_mov_b64_e32 v[6:7], v[8:9]
	s_branch .LBB0_2
.LBB0_8:
	v_mov_b64_e32 v[8:9], v[6:7]
.LBB0_9:
	s_lshl_b64 s[2:3], s[6:7], 3
	s_add_u32 s2, s10, s2
	s_addc_u32 s3, s11, s3
	s_load_dwordx2 s[6:7], s[2:3], 0x0
	s_load_dwordx2 s[10:11], s[0:1], 0x20
	s_mov_b32 s2, 0x11bb4a5
                                        ; implicit-def: $vgpr26
                                        ; implicit-def: $vgpr24
	s_waitcnt lgkmcnt(0)
	v_mul_lo_u32 v1, s6, v9
	v_mul_lo_u32 v4, s7, v8
	v_mad_u64_u32 v[2:3], s[0:1], s6, v8, v[2:3]
	v_add3_u32 v3, v4, v3, v1
	v_mul_hi_u32 v1, v0, s2
	v_mul_u32_u24_e32 v1, 0xe7, v1
	v_cmp_gt_u64_e64 s[0:1], s[10:11], v[8:9]
	v_cmp_le_u64_e32 vcc, s[10:11], v[8:9]
	v_sub_u32_e32 v20, v0, v1
	s_and_saveexec_b64 s[2:3], vcc
	s_xor_b64 s[2:3], exec, s[2:3]
; %bb.10:
	v_add_u32_e32 v26, 0xe7, v20
	v_add_u32_e32 v24, 0x1ce, v20
; %bb.11:
	s_or_saveexec_b64 s[2:3], s[2:3]
	v_lshl_add_u64 v[22:23], v[2:3], 3, s[8:9]
	v_lshl_add_u32 v75, v20, 3, 0
	s_xor_b64 exec, exec, s[2:3]
	s_cbranch_execz .LBB0_13
; %bb.12:
	v_mov_b32_e32 v21, 0
	v_lshl_add_u64 v[0:1], v[20:21], 3, v[22:23]
	v_add_co_u32_e32 v2, vcc, 0x1000, v0
	v_add_u32_e32 v26, 0xe7, v20
	s_nop 0
	v_addc_co_u32_e32 v3, vcc, 0, v1, vcc
	v_add_co_u32_e32 v12, vcc, 0x2000, v0
	global_load_dwordx2 v[4:5], v[0:1], off
	global_load_dwordx2 v[6:7], v[0:1], off offset:1848
	global_load_dwordx2 v[8:9], v[0:1], off offset:3696
	;; [unrolled: 1-line block ×3, first 2 shown]
	v_addc_co_u32_e32 v13, vcc, 0, v1, vcc
	v_add_co_u32_e32 v0, vcc, 0x3000, v0
	v_add_u32_e32 v24, 0x1ce, v20
	s_nop 0
	v_addc_co_u32_e32 v1, vcc, 0, v1, vcc
	global_load_dwordx2 v[14:15], v[2:3], off offset:3296
	global_load_dwordx2 v[16:17], v[12:13], off offset:1048
	;; [unrolled: 1-line block ×4, first 2 shown]
	v_add_u32_e32 v0, 0xe00, v75
	v_add_u32_e32 v1, 0x1c80, v75
	s_waitcnt vmcnt(6)
	ds_write2_b64 v75, v[4:5], v[6:7] offset1:231
	s_waitcnt vmcnt(4)
	ds_write2_b64 v0, v[8:9], v[10:11] offset0:14 offset1:245
	s_waitcnt vmcnt(2)
	ds_write2_b64 v1, v[14:15], v[16:17] offset0:12 offset1:243
	v_add_u32_e32 v0, 0x2b00, v75
	s_waitcnt vmcnt(0)
	ds_write2_b64 v0, v[18:19], v[28:29] offset0:10 offset1:241
.LBB0_13:
	s_or_b64 exec, exec, s[2:3]
	v_add_u32_e32 v0, 0xc00, v75
	s_waitcnt lgkmcnt(0)
	s_barrier
	ds_read2_b64 v[4:7], v0 offset0:78 offset1:232
	v_add_u32_e32 v0, 0x2600, v75
	ds_read2_b64 v[30:33], v0 offset0:16 offset1:247
	v_add_u32_e32 v0, 0x1a00, v75
	ds_read2_b64 v[12:15], v75 offset1:231
	ds_read2_b64 v[34:37], v0 offset0:15 offset1:246
	ds_read_b64 v[2:3], v75 offset:13552
	s_mov_b32 s2, 0x3f5db3d7
	s_waitcnt lgkmcnt(0)
	s_barrier
	v_pk_add_f32 v[0:1], v[12:13], v[6:7]
	v_pk_add_f32 v[8:9], v[36:37], v[2:3]
	v_pk_add_f32 v[10:11], v[36:37], v[2:3] neg_lo:[0,1] neg_hi:[0,1]
	v_pk_fma_f32 v[8:9], v[8:9], 0.5, v[4:5] op_sel_hi:[1,0,1] neg_lo:[1,0,0] neg_hi:[1,0,0]
	v_pk_add_f32 v[4:5], v[4:5], v[36:37]
	v_pk_mul_f32 v[10:11], v[10:11], s[2:3] op_sel_hi:[1,0]
	v_pk_add_f32 v[16:17], v[4:5], v[2:3]
	v_pk_add_f32 v[2:3], v[14:15], v[34:35]
	v_pk_add_f32 v[28:29], v[8:9], v[10:11] op_sel:[0,1] op_sel_hi:[1,0] neg_lo:[0,1] neg_hi:[0,1]
	v_pk_add_f32 v[18:19], v[8:9], v[10:11] op_sel:[0,1] op_sel_hi:[1,0]
	v_pk_add_f32 v[10:11], v[2:3], v[32:33]
	v_pk_add_f32 v[2:3], v[6:7], v[30:31]
	v_pk_add_f32 v[6:7], v[6:7], v[30:31] neg_lo:[0,1] neg_hi:[0,1]
	v_pk_fma_f32 v[2:3], v[2:3], 0.5, v[12:13] op_sel_hi:[1,0,1] neg_lo:[1,0,0] neg_hi:[1,0,0]
	v_pk_mul_f32 v[6:7], v[6:7], s[2:3] op_sel_hi:[1,0]
	v_pk_add_f32 v[0:1], v[0:1], v[30:31]
	v_pk_add_f32 v[8:9], v[2:3], v[6:7] op_sel:[0,1] op_sel_hi:[1,0] neg_lo:[0,1] neg_hi:[0,1]
	v_pk_add_f32 v[12:13], v[2:3], v[6:7] op_sel:[0,1] op_sel_hi:[1,0]
	v_mov_b32_e32 v4, v18
	v_lshl_add_u32 v18, v20, 4, v75
	v_mov_b32_e32 v2, v8
	v_mov_b32_e32 v3, v13
	ds_write2_b64 v18, v[0:1], v[2:3] offset1:1
	v_mov_b32_e32 v2, v12
	v_mov_b32_e32 v3, v9
	ds_write_b64 v18, v[2:3] offset:16
	v_pk_add_f32 v[2:3], v[34:35], v[32:33]
	v_pk_add_f32 v[6:7], v[34:35], v[32:33] neg_lo:[0,1] neg_hi:[0,1]
	v_pk_fma_f32 v[2:3], v[2:3], 0.5, v[14:15] op_sel_hi:[1,0,1] neg_lo:[1,0,0] neg_hi:[1,0,0]
	v_pk_mul_f32 v[6:7], v[6:7], s[2:3] op_sel_hi:[1,0]
	v_mad_i32_i24 v21, v26, 24, 0
	v_pk_add_f32 v[14:15], v[2:3], v[6:7] op_sel:[0,1] op_sel_hi:[1,0] neg_lo:[0,1] neg_hi:[0,1]
	v_pk_add_f32 v[30:31], v[2:3], v[6:7] op_sel:[0,1] op_sel_hi:[1,0]
	v_mov_b32_e32 v2, v14
	v_mov_b32_e32 v3, v31
	s_movk_i32 s2, 0x9a
	v_mov_b32_e32 v5, v29
	ds_write2_b64 v21, v[10:11], v[2:3] offset1:1
	v_mov_b32_e32 v2, v30
	v_mov_b32_e32 v3, v15
	v_cmp_gt_u32_e32 vcc, s2, v20
	ds_write_b64 v21, v[2:3] offset:16
	s_and_saveexec_b64 s[2:3], vcc
	s_cbranch_execz .LBB0_15
; %bb.14:
	v_mad_i32_i24 v2, v24, 24, 0
	v_mov_b32_e32 v29, v19
	ds_write2_b64 v2, v[16:17], v[28:29] offset1:1
	ds_write_b64 v2, v[4:5] offset:16
.LBB0_15:
	s_or_b64 exec, exec, s[2:3]
	s_movk_i32 s2, 0xa8
	v_cmp_gt_u32_e32 vcc, s2, v20
	s_waitcnt lgkmcnt(0)
	s_barrier
	s_waitcnt lgkmcnt(0)
                                        ; implicit-def: $vgpr2
                                        ; implicit-def: $vgpr32
                                        ; implicit-def: $vgpr18
	s_and_saveexec_b64 s[2:3], vcc
	s_cbranch_execz .LBB0_17
; %bb.16:
	v_add_u32_e32 v4, 0x800, v75
	ds_read2_b64 v[8:11], v4 offset0:80 offset1:248
	v_add_u32_e32 v4, 0x1400, v75
	v_add_u32_e32 v5, 0x1e00, v75
	ds_read2_b64 v[0:3], v75 offset1:168
	ds_read2_b64 v[16:19], v5 offset0:48 offset1:216
	ds_read2_b64 v[12:15], v4 offset0:32 offset1:200
	v_add_u32_e32 v4, 0x2800, v75
	ds_read2_b64 v[4:7], v4 offset0:64 offset1:232
	ds_read_b64 v[32:33], v75 offset:13440
	s_waitcnt lgkmcnt(3)
	v_mov_b32_e32 v28, v18
	s_waitcnt lgkmcnt(2)
	v_mov_b32_e32 v30, v14
	v_mov_b32_e32 v31, v13
	;; [unrolled: 1-line block ×6, first 2 shown]
	s_waitcnt lgkmcnt(1)
	v_mov_b32_e32 v2, v7
	s_waitcnt lgkmcnt(0)
	v_mov_b32_e32 v18, v33
.LBB0_17:
	s_or_b64 exec, exec, s[2:3]
	s_movk_i32 s2, 0xab
	v_mul_lo_u16_sdwa v3, v20, s2 dst_sel:DWORD dst_unused:UNUSED_PAD src0_sel:BYTE_0 src1_sel:DWORD
	v_lshrrev_b16_e32 v21, 9, v3
	v_mul_lo_u16_e32 v3, 3, v21
	v_sub_u16_e32 v25, v20, v3
	v_mov_b32_e32 v3, 10
	v_mul_u32_u24_sdwa v3, v25, v3 dst_sel:DWORD dst_unused:UNUSED_PAD src0_sel:BYTE_0 src1_sel:DWORD
	v_lshlrev_b32_e32 v3, 3, v3
	global_load_dwordx4 v[34:37], v3, s[4:5] offset:16
	global_load_dwordx4 v[38:41], v3, s[4:5] offset:32
	global_load_dwordx4 v[42:45], v3, s[4:5]
	global_load_dwordx4 v[46:49], v3, s[4:5] offset:48
	global_load_dwordx4 v[50:53], v3, s[4:5] offset:64
	v_mov_b32_e32 v58, v15
	v_mov_b32_e32 v60, v17
	;; [unrolled: 1-line block ×7, first 2 shown]
	s_mov_b32 s6, 0xbf4178ce
	s_mov_b32 s7, 0xbf27a4f4
	;; [unrolled: 1-line block ×30, first 2 shown]
	s_barrier
	s_waitcnt vmcnt(4)
	v_pk_mul_f32 v[68:69], v[56:57], v[36:37] op_sel_hi:[0,1]
	s_waitcnt vmcnt(3)
	v_pk_mul_f32 v[72:73], v[58:59], v[38:39] op_sel_hi:[0,1]
	v_pk_mul_f32 v[80:81], v[60:61], v[40:41] op_sel_hi:[0,1]
	s_waitcnt vmcnt(2)
	v_mul_f32_e32 v5, v8, v43
	v_mov_b32_e32 v84, v45
	v_mov_b32_e32 v85, v44
	v_pk_mul_f32 v[44:45], v[12:13], v[44:45] op_sel_hi:[0,1]
	s_waitcnt vmcnt(0)
	v_pk_mul_f32 v[18:19], v[18:19], v[52:53] op_sel_hi:[0,1]
	v_pk_mul_f32 v[70:71], v[54:55], v[34:35] op_sel_hi:[0,1]
	v_mul_f32_e32 v54, v13, v43
	v_pk_mul_f32 v[86:87], v[62:63], v[46:47] op_sel_hi:[0,1]
	v_pk_mul_f32 v[66:67], v[66:67], v[48:49] op_sel_hi:[0,1]
	;; [unrolled: 1-line block ×3, first 2 shown]
	v_pk_fma_f32 v[60:61], v[30:31], v[38:39], v[72:73] op_sel:[0,0,1] op_sel_hi:[0,1,0]
	v_pk_fma_f32 v[82:83], v[30:31], v[38:39], v[72:73] op_sel:[0,0,1] op_sel_hi:[0,1,0] neg_lo:[1,0,0] neg_hi:[1,0,0]
	v_pk_fma_f32 v[62:63], v[16:17], v[40:41], v[80:81] op_sel:[0,0,1] op_sel_hi:[0,1,0]
	v_pk_fma_f32 v[88:89], v[16:17], v[40:41], v[80:81] op_sel:[0,0,1] op_sel_hi:[0,1,0] neg_lo:[1,0,0] neg_hi:[1,0,0]
	v_fma_f32 v74, v13, v42, -v5
	v_pk_fma_f32 v[72:73], v[64:65], v[84:85], v[44:45] op_sel_hi:[0,1,1]
	v_pk_fma_f32 v[80:81], v[64:65], v[84:85], v[44:45] op_sel_hi:[0,1,1] neg_lo:[0,0,1] neg_hi:[0,0,1]
	v_pk_fma_f32 v[84:85], v[32:33], v[52:53], v[18:19] op_sel:[0,0,1] op_sel_hi:[0,1,0] neg_lo:[1,0,0] neg_hi:[1,0,0]
	v_pk_fma_f32 v[56:57], v[14:15], v[36:37], v[68:69] op_sel:[0,0,1] op_sel_hi:[0,1,0]
	v_pk_fma_f32 v[78:79], v[14:15], v[36:37], v[68:69] op_sel:[0,0,1] op_sel_hi:[0,1,0] neg_lo:[1,0,0] neg_hi:[1,0,0]
	v_pk_fma_f32 v[58:59], v[10:11], v[34:35], v[70:71] op_sel:[0,0,1] op_sel_hi:[0,1,0]
	v_pk_fma_f32 v[76:77], v[10:11], v[34:35], v[70:71] op_sel:[0,0,1] op_sel_hi:[0,1,0] neg_lo:[1,0,0] neg_hi:[1,0,0]
	v_fmac_f32_e32 v54, v8, v42
	v_pk_fma_f32 v[70:71], v[28:29], v[46:47], v[86:87] op_sel:[0,0,1] op_sel_hi:[0,1,0]
	v_pk_fma_f32 v[92:93], v[28:29], v[46:47], v[86:87] op_sel:[0,0,1] op_sel_hi:[0,1,0] neg_lo:[1,0,0] neg_hi:[1,0,0]
	v_pk_fma_f32 v[68:69], v[4:5], v[48:49], v[66:67] op_sel:[0,0,1] op_sel_hi:[0,1,0]
	v_pk_fma_f32 v[90:91], v[4:5], v[48:49], v[66:67] op_sel:[0,0,1] op_sel_hi:[0,1,0] neg_lo:[1,0,0] neg_hi:[1,0,0]
	v_pk_fma_f32 v[86:87], v[6:7], v[50:51], v[2:3] op_sel:[0,0,1] op_sel_hi:[0,1,0] neg_lo:[1,0,0] neg_hi:[1,0,0]
	v_pk_fma_f32 v[64:65], v[32:33], v[52:53], v[18:19] op_sel:[0,0,1] op_sel_hi:[0,1,0]
	v_pk_add_f32 v[18:19], v[74:75], v[84:85] op_sel:[0,1] neg_lo:[0,1] neg_hi:[0,1]
	v_pk_add_f32 v[4:5], v[74:75], v[84:85] op_sel_hi:[0,1]
	v_pk_fma_f32 v[66:67], v[6:7], v[50:51], v[2:3] op_sel:[0,0,1] op_sel_hi:[0,1,0]
	v_pk_add_f32 v[14:15], v[54:55], v[64:65]
	v_pk_add_f32 v[2:3], v[54:55], v[64:65] neg_lo:[0,1] neg_hi:[0,1]
	v_pk_add_f32 v[8:9], v[80:81], v[86:87] neg_lo:[0,1] neg_hi:[0,1]
	v_pk_add_f32 v[28:29], v[80:81], v[86:87]
	v_mov_b32_e32 v19, v5
	v_pk_add_f32 v[12:13], v[72:73], v[66:67]
	v_pk_add_f32 v[6:7], v[72:73], v[66:67] neg_lo:[0,1] neg_hi:[0,1]
	v_mov_b32_e32 v15, v2
	v_mov_b32_e32 v28, v9
	v_pk_mul_f32 v[44:45], v[18:19], s[6:7]
	v_mov_b32_e32 v13, v6
	v_pk_mul_f32 v[36:37], v[28:29], s[22:23]
	v_pk_fma_f32 v[2:3], v[14:15], s[2:3], v[44:45] neg_lo:[0,0,1] neg_hi:[0,0,1]
	v_pk_fma_f32 v[46:47], v[14:15], s[2:3], v[44:45]
	v_pk_fma_f32 v[4:5], v[12:13], s[12:13], v[36:37] neg_lo:[0,0,1] neg_hi:[0,0,1]
	v_pk_fma_f32 v[42:43], v[12:13], s[12:13], v[36:37]
	v_mov_b32_e32 v3, v47
	v_pk_add_f32 v[10:11], v[58:59], v[68:69]
	v_pk_add_f32 v[16:17], v[58:59], v[68:69] neg_lo:[0,1] neg_hi:[0,1]
	v_mov_b32_e32 v5, v43
	v_pk_add_f32 v[2:3], v[0:1], v[2:3]
	v_pk_add_f32 v[30:31], v[76:77], v[90:91] neg_lo:[0,1] neg_hi:[0,1]
	v_pk_add_f32 v[32:33], v[76:77], v[90:91]
	v_mov_b32_e32 v11, v16
	v_pk_add_f32 v[2:3], v[4:5], v[2:3]
	v_pk_add_f32 v[16:17], v[56:57], v[70:71]
	v_pk_add_f32 v[4:5], v[56:57], v[70:71] neg_lo:[0,1] neg_hi:[0,1]
	v_mov_b32_e32 v32, v31
	v_mov_b32_e32 v17, v4
	v_pk_add_f32 v[4:5], v[78:79], v[92:93] neg_lo:[0,1] neg_hi:[0,1]
	v_pk_add_f32 v[40:41], v[78:79], v[92:93]
	v_pk_mul_f32 v[34:35], v[32:33], s[28:29]
	v_mov_b32_e32 v40, v5
	v_pk_fma_f32 v[6:7], v[10:11], s[10:11], v[34:35] neg_lo:[0,0,1] neg_hi:[0,0,1]
	v_pk_fma_f32 v[38:39], v[10:11], s[10:11], v[34:35]
	v_pk_mul_f32 v[52:53], v[40:41], s[16:17]
	v_mov_b32_e32 v7, v39
	v_pk_fma_f32 v[4:5], v[16:17], s[8:9], v[52:53] neg_lo:[0,0,1] neg_hi:[0,0,1]
	v_pk_fma_f32 v[48:49], v[16:17], s[8:9], v[52:53]
	v_pk_add_f32 v[2:3], v[6:7], v[2:3]
	v_mov_b32_e32 v5, v49
	v_pk_add_f32 v[4:5], v[4:5], v[2:3]
	v_pk_add_f32 v[30:31], v[60:61], v[62:63]
	v_pk_add_f32 v[2:3], v[60:61], v[62:63] neg_lo:[0,1] neg_hi:[0,1]
	v_pk_add_f32 v[50:51], v[82:83], v[88:89]
	v_mov_b32_e32 v31, v2
	v_pk_add_f32 v[2:3], v[82:83], v[88:89] neg_lo:[0,1] neg_hi:[0,1]
	v_pk_mul_f32 v[96:97], v[18:19], s[28:29]
	v_mov_b32_e32 v50, v3
	v_pk_fma_f32 v[94:95], v[14:15], s[10:11], v[96:97]
	v_pk_fma_f32 v[2:3], v[14:15], s[10:11], v[96:97] neg_lo:[0,0,1] neg_hi:[0,0,1]
	v_pk_mul_f32 v[112:113], v[28:29], s[18:19]
	v_mov_b32_e32 v3, v95
	v_pk_fma_f32 v[100:101], v[12:13], s[30:31], v[112:113]
	v_pk_fma_f32 v[6:7], v[12:13], s[30:31], v[112:113] neg_lo:[0,0,1] neg_hi:[0,0,1]
	v_pk_add_f32 v[2:3], v[0:1], v[2:3]
	v_mov_b32_e32 v7, v101
	v_pk_mul_f32 v[120:121], v[32:33], s[20:21]
	v_pk_add_f32 v[2:3], v[6:7], v[2:3]
	v_pk_fma_f32 v[114:115], v[10:11], s[14:15], v[120:121]
	v_pk_fma_f32 v[6:7], v[10:11], s[14:15], v[120:121] neg_lo:[0,0,1] neg_hi:[0,0,1]
	v_pk_mul_f32 v[118:119], v[40:41], s[6:7]
	v_mov_b32_e32 v7, v115
	v_pk_add_f32 v[2:3], v[6:7], v[2:3]
	v_pk_fma_f32 v[110:111], v[16:17], s[2:3], v[118:119]
	v_pk_fma_f32 v[6:7], v[16:17], s[2:3], v[118:119] neg_lo:[0,0,1] neg_hi:[0,0,1]
	v_pk_mul_f32 v[116:117], v[50:51], s[16:17]
	v_mov_b32_e32 v7, v111
	;; [unrolled: 5-line block ×3, first 2 shown]
	v_pk_add_f32 v[2:3], v[6:7], v[2:3]
	v_pk_fma_f32 v[6:7], v[14:15], s[30:31], v[102:103] neg_lo:[0,0,1] neg_hi:[0,0,1]
	v_pk_fma_f32 v[98:99], v[14:15], s[30:31], v[102:103]
	v_pk_mul_f32 v[106:107], v[28:29], s[6:7]
	v_mov_b32_e32 v7, v99
	v_pk_fma_f32 v[8:9], v[12:13], s[2:3], v[106:107] neg_lo:[0,0,1] neg_hi:[0,0,1]
	v_pk_fma_f32 v[104:105], v[12:13], s[2:3], v[106:107]
	v_pk_add_f32 v[6:7], v[0:1], v[6:7]
	v_mov_b32_e32 v9, v105
	v_pk_mul_f32 v[124:125], v[32:33], s[24:25]
	v_pk_add_f32 v[6:7], v[8:9], v[6:7]
	v_pk_fma_f32 v[8:9], v[10:11], s[34:35], v[124:125] neg_lo:[0,0,1] neg_hi:[0,0,1]
	v_pk_fma_f32 v[122:123], v[10:11], s[34:35], v[124:125]
	v_pk_mul_f32 v[128:129], v[40:41], s[22:23]
	v_mov_b32_e32 v9, v123
	v_pk_add_f32 v[6:7], v[8:9], v[6:7]
	v_pk_fma_f32 v[8:9], v[16:17], s[12:13], v[128:129] neg_lo:[0,0,1] neg_hi:[0,0,1]
	v_pk_fma_f32 v[126:127], v[16:17], s[12:13], v[128:129]
	s_mov_b32 s22, s29
	v_mov_b32_e32 v9, v127
	s_mov_b32 s23, s26
	v_pk_mul_f32 v[132:133], v[50:51], s[26:27]
	v_pk_add_f32 v[6:7], v[8:9], v[6:7]
	v_pk_fma_f32 v[8:9], v[30:31], s[22:23], v[132:133] neg_lo:[0,0,1] neg_hi:[0,0,1]
	v_pk_fma_f32 v[130:131], v[30:31], s[22:23], v[132:133]
	v_pk_mul_f32 v[140:141], v[18:19], s[20:21]
	v_mov_b32_e32 v9, v131
	v_pk_add_f32 v[6:7], v[8:9], v[6:7]
	v_pk_fma_f32 v[8:9], v[14:15], s[14:15], v[140:141] neg_lo:[0,0,1] neg_hi:[0,0,1]
	v_pk_fma_f32 v[138:139], v[14:15], s[14:15], v[140:141]
	v_pk_mul_f32 v[144:145], v[28:29], s[24:25]
	v_mov_b32_e32 v9, v139
	v_pk_fma_f32 v[134:135], v[12:13], s[34:35], v[144:145] neg_lo:[0,0,1] neg_hi:[0,0,1]
	v_pk_fma_f32 v[142:143], v[12:13], s[34:35], v[144:145]
	s_mov_b32 s18, 0x3f68dda4
	v_pk_add_f32 v[8:9], v[0:1], v[8:9]
	v_mov_b32_e32 v135, v143
	s_mov_b32 s24, s19
	s_mov_b32 s25, s18
	v_pk_mul_f32 v[148:149], v[32:33], s[18:19]
	v_pk_add_f32 v[8:9], v[134:135], v[8:9]
	v_pk_fma_f32 v[134:135], v[10:11], s[24:25], v[148:149] neg_lo:[0,0,1] neg_hi:[0,0,1]
	v_pk_fma_f32 v[146:147], v[10:11], s[24:25], v[148:149]
	v_pk_mul_f32 v[152:153], v[40:41], s[28:29]
	v_mov_b32_e32 v135, v147
	v_pk_add_f32 v[8:9], v[134:135], v[8:9]
	v_pk_fma_f32 v[134:135], v[16:17], s[10:11], v[152:153] neg_lo:[0,0,1] neg_hi:[0,0,1]
	v_pk_fma_f32 v[150:151], v[16:17], s[10:11], v[152:153]
	v_pk_mul_f32 v[156:157], v[50:51], s[6:7]
	v_mov_b32_e32 v135, v151
	;; [unrolled: 5-line block ×3, first 2 shown]
	v_pk_add_f32 v[8:9], v[134:135], v[8:9]
	v_pk_fma_f32 v[158:159], v[30:31], s[24:25], v[136:137] neg_lo:[0,0,1] neg_hi:[0,0,1]
	v_pk_fma_f32 v[134:135], v[30:31], s[24:25], v[136:137]
	s_nop 0
	v_mov_b32_e32 v159, v135
	v_pk_add_f32 v[4:5], v[158:159], v[4:5]
	s_and_saveexec_b64 s[28:29], vcc
	s_cbranch_execz .LBB0_19
; %bb.18:
	v_mov_b32_e32 v55, v74
	v_mov_b32_e32 v73, v81
	v_pk_add_f32 v[54:55], v[0:1], v[54:55]
	v_mov_b32_e32 v59, v77
	v_pk_add_f32 v[54:55], v[54:55], v[72:73]
	;; [unrolled: 2-line block ×6, first 2 shown]
	v_pk_mul_f32 v[62:63], v[14:15], s[10:11]
	v_mov_b32_e32 v69, v91
	v_pk_add_f32 v[54:55], v[54:55], v[70:71]
	v_pk_add_f32 v[62:63], v[96:97], v[62:63] neg_lo:[0,1] neg_hi:[0,1]
	v_mov_b32_e32 v67, v87
	v_pk_add_f32 v[54:55], v[54:55], v[68:69]
	v_mov_b32_e32 v95, v63
	v_pk_mul_f32 v[62:63], v[12:13], s[30:31]
	v_pk_add_f32 v[54:55], v[54:55], v[66:67]
	v_pk_add_f32 v[62:63], v[112:113], v[62:63] neg_lo:[0,1] neg_hi:[0,1]
	v_pk_mul_f32 v[66:67], v[10:11], s[14:15]
	v_pk_mul_f32 v[56:57], v[14:15], s[2:3]
	v_mov_b32_e32 v101, v63
	v_pk_mul_f32 v[62:63], v[16:17], s[2:3]
	v_pk_add_f32 v[68:69], v[0:1], v[94:95]
	v_pk_add_f32 v[66:67], v[120:121], v[66:67] neg_lo:[0,1] neg_hi:[0,1]
	v_pk_mul_f32 v[72:73], v[14:15], s[30:31]
	v_pk_mul_f32 v[58:59], v[12:13], s[12:13]
	v_pk_add_f32 v[68:69], v[100:101], v[68:69]
	v_pk_mul_f32 v[70:71], v[30:31], s[8:9]
	v_mov_b32_e32 v115, v67
	v_pk_mul_f32 v[66:67], v[12:13], s[2:3]
	v_pk_add_f32 v[62:63], v[118:119], v[62:63] neg_lo:[0,1] neg_hi:[0,1]
	v_pk_add_f32 v[72:73], v[102:103], v[72:73] neg_lo:[0,1] neg_hi:[0,1]
	v_pk_add_f32 v[44:45], v[44:45], v[56:57] neg_lo:[0,1] neg_hi:[0,1]
	v_mov_b32_e32 v27, 3
	v_pk_mul_f32 v[60:61], v[10:11], s[10:11]
	v_pk_add_f32 v[68:69], v[114:115], v[68:69]
	v_mov_b32_e32 v111, v63
	v_pk_add_f32 v[70:71], v[116:117], v[70:71] neg_lo:[0,1] neg_hi:[0,1]
	v_mov_b32_e32 v99, v73
	v_pk_add_f32 v[66:67], v[106:107], v[66:67] neg_lo:[0,1] neg_hi:[0,1]
	;; [unrolled: 2-line block ×3, first 2 shown]
	v_mov_b32_e32 v65, v85
	v_lshlrev_b32_sdwa v25, v27, v25 dst_sel:DWORD dst_unused:UNUSED_PAD src0_sel:DWORD src1_sel:BYTE_0
	v_pk_mul_f32 v[76:77], v[10:11], s[34:35]
	v_pk_add_f32 v[68:69], v[110:111], v[68:69]
	v_mov_b32_e32 v109, v71
	v_mul_u32_u24_e32 v21, 0x108, v21
	v_pk_add_f32 v[72:73], v[0:1], v[98:99]
	v_mov_b32_e32 v105, v67
	v_pk_add_f32 v[44:45], v[0:1], v[46:47]
	v_mov_b32_e32 v43, v37
	v_pk_add_f32 v[34:35], v[34:35], v[60:61] neg_lo:[0,1] neg_hi:[0,1]
	v_pk_add_f32 v[54:55], v[54:55], v[64:65]
	v_pk_mul_f32 v[64:65], v[16:17], s[8:9]
	v_pk_mul_f32 v[78:79], v[16:17], s[12:13]
	v_pk_add_f32 v[68:69], v[108:109], v[68:69]
	v_add3_u32 v21, 0, v21, v25
	v_pk_add_f32 v[66:67], v[104:105], v[72:73]
	v_pk_add_f32 v[72:73], v[124:125], v[76:77] neg_lo:[0,1] neg_hi:[0,1]
	v_pk_add_f32 v[36:37], v[42:43], v[44:45]
	v_mov_b32_e32 v39, v35
	v_pk_mul_f32 v[62:63], v[30:31], s[22:23]
	ds_write2_b64 v21, v[54:55], v[68:69] offset1:3
	v_pk_mul_f32 v[68:69], v[30:31], s[24:25]
	v_mov_b32_e32 v123, v73
	v_pk_add_f32 v[72:73], v[128:129], v[78:79] neg_lo:[0,1] neg_hi:[0,1]
	v_pk_add_f32 v[34:35], v[38:39], v[36:37]
	v_pk_add_f32 v[36:37], v[52:53], v[64:65] neg_lo:[0,1] neg_hi:[0,1]
	v_pk_add_f32 v[66:67], v[122:123], v[66:67]
	v_mov_b32_e32 v127, v73
	v_pk_add_f32 v[62:63], v[132:133], v[62:63] neg_lo:[0,1] neg_hi:[0,1]
	v_mov_b32_e32 v49, v37
	v_pk_add_f32 v[36:37], v[136:137], v[68:69] neg_lo:[0,1] neg_hi:[0,1]
	v_pk_mul_f32 v[18:19], v[18:19], s[16:17]
	v_pk_mul_f32 v[80:81], v[14:15], s[14:15]
	v_pk_add_f32 v[66:67], v[126:127], v[66:67]
	v_mov_b32_e32 v131, v63
	v_mov_b32_e32 v135, v37
	v_pk_mul_f32 v[28:29], v[28:29], s[26:27]
	v_pk_mul_f32 v[36:37], v[40:41], s[18:19]
	v_pk_fma_f32 v[40:41], v[14:15], s[8:9], v[18:19]
	v_pk_fma_f32 v[42:43], v[14:15], s[8:9], v[18:19] neg_lo:[1,0,0] neg_hi:[1,0,0]
	v_pk_add_f32 v[62:63], v[130:131], v[66:67]
	v_pk_add_f32 v[66:67], v[140:141], v[80:81] neg_lo:[0,1] neg_hi:[0,1]
	v_mov_b32_e32 v42, v40
	v_pk_fma_f32 v[44:45], v[12:13], s[22:23], v[28:29]
	v_pk_fma_f32 v[46:47], v[12:13], s[22:23], v[28:29] neg_lo:[1,0,0] neg_hi:[1,0,0]
	v_pk_fma_f32 v[14:15], v[14:15], s[8:9], v[18:19] neg_lo:[0,0,1] neg_hi:[0,0,1]
	v_pk_mul_f32 v[82:83], v[12:13], s[34:35]
	v_mov_b32_e32 v139, v67
	v_pk_mul_f32 v[32:33], v[32:33], s[6:7]
	v_pk_add_f32 v[42:43], v[0:1], v[42:43]
	v_mov_b32_e32 v46, v44
	v_mov_b32_e32 v15, v41
	v_pk_fma_f32 v[12:13], v[12:13], s[22:23], v[28:29] neg_lo:[0,0,1] neg_hi:[0,0,1]
	v_pk_mul_f32 v[70:71], v[10:11], s[24:25]
	v_pk_add_f32 v[66:67], v[0:1], v[138:139]
	v_pk_add_f32 v[34:35], v[48:49], v[34:35]
	;; [unrolled: 1-line block ×3, first 2 shown]
	v_pk_fma_f32 v[46:47], v[10:11], s[2:3], v[32:33]
	v_pk_fma_f32 v[48:49], v[10:11], s[2:3], v[32:33] neg_lo:[1,0,0] neg_hi:[1,0,0]
	v_pk_add_f32 v[0:1], v[0:1], v[14:15]
	v_mov_b32_e32 v13, v45
	v_pk_fma_f32 v[10:11], v[10:11], s[2:3], v[32:33] neg_lo:[0,0,1] neg_hi:[0,0,1]
	v_pk_add_f32 v[72:73], v[144:145], v[82:83] neg_lo:[0,1] neg_hi:[0,1]
	v_mov_b32_e32 v48, v46
	v_pk_add_f32 v[0:1], v[12:13], v[0:1]
	v_mov_b32_e32 v11, v47
	v_pk_mul_f32 v[84:85], v[16:17], s[10:11]
	v_mov_b32_e32 v143, v73
	v_pk_add_f32 v[70:71], v[148:149], v[70:71] neg_lo:[0,1] neg_hi:[0,1]
	v_pk_mul_f32 v[38:39], v[50:51], s[20:21]
	v_pk_add_f32 v[42:43], v[48:49], v[42:43]
	v_pk_fma_f32 v[48:49], v[16:17], s[24:25], v[36:37]
	v_pk_fma_f32 v[50:51], v[16:17], s[24:25], v[36:37] neg_lo:[1,0,0] neg_hi:[1,0,0]
	v_pk_add_f32 v[0:1], v[10:11], v[0:1]
	v_pk_fma_f32 v[10:11], v[16:17], s[24:25], v[36:37] neg_lo:[0,0,1] neg_hi:[0,0,1]
	v_pk_mul_f32 v[54:55], v[30:31], s[2:3]
	v_pk_add_f32 v[66:67], v[142:143], v[66:67]
	v_mov_b32_e32 v147, v71
	v_pk_add_f32 v[70:71], v[152:153], v[84:85] neg_lo:[0,1] neg_hi:[0,1]
	v_mov_b32_e32 v50, v48
	v_mov_b32_e32 v11, v49
	v_pk_add_f32 v[66:67], v[146:147], v[66:67]
	v_mov_b32_e32 v151, v71
	v_pk_add_f32 v[54:55], v[156:157], v[54:55] neg_lo:[0,1] neg_hi:[0,1]
	v_pk_add_f32 v[42:43], v[50:51], v[42:43]
	v_pk_fma_f32 v[50:51], v[30:31], s[14:15], v[38:39]
	v_pk_fma_f32 v[52:53], v[30:31], s[14:15], v[38:39] neg_lo:[1,0,0] neg_hi:[1,0,0]
	v_pk_add_f32 v[0:1], v[10:11], v[0:1]
	v_pk_fma_f32 v[10:11], v[30:31], s[14:15], v[38:39] neg_lo:[0,0,1] neg_hi:[0,0,1]
	v_pk_add_f32 v[66:67], v[150:151], v[66:67]
	v_mov_b32_e32 v155, v55
	v_mov_b32_e32 v52, v50
	;; [unrolled: 1-line block ×3, first 2 shown]
	v_pk_add_f32 v[54:55], v[154:155], v[66:67]
	v_pk_add_f32 v[34:35], v[134:135], v[34:35]
	;; [unrolled: 1-line block ×4, first 2 shown]
	ds_write2_b64 v21, v[62:63], v[54:55] offset0:6 offset1:9
	ds_write2_b64 v21, v[34:35], v[42:43] offset0:12 offset1:15
	;; [unrolled: 1-line block ×4, first 2 shown]
	ds_write_b64 v21, v[2:3] offset:240
.LBB0_19:
	s_or_b64 exec, exec, s[28:29]
	s_waitcnt lgkmcnt(0)
	s_barrier
	ds_read_b64 v[14:15], v75
	ds_read_b64 v[28:29], v75 offset:2112
	ds_read_b64 v[16:17], v75 offset:4224
	;; [unrolled: 1-line block ×6, first 2 shown]
	v_cmp_gt_u32_e32 vcc, 33, v20
	v_lshl_add_u32 v36, v26, 3, 0
                                        ; implicit-def: $vgpr10
                                        ; implicit-def: $vgpr12
                                        ; implicit-def: $vgpr0
	s_and_saveexec_b64 s[2:3], vcc
	s_cbranch_execz .LBB0_21
; %bb.20:
	v_add_u32_e32 v0, 0x1400, v75
	ds_read2_b32 v[6:7], v0 offset0:238 offset1:239
	ds_read_b64 v[4:5], v36
	ds_read_b64 v[8:9], v75 offset:3960
	ds_read_b64 v[2:3], v75 offset:8184
	;; [unrolled: 1-line block ×5, first 2 shown]
.LBB0_21:
	s_or_b64 exec, exec, s[2:3]
	s_movk_i32 s2, 0xf9
	v_mul_lo_u16_sdwa v21, v20, s2 dst_sel:DWORD dst_unused:UNUSED_PAD src0_sel:BYTE_0 src1_sel:DWORD
	v_lshrrev_b16_e32 v21, 13, v21
	v_mul_lo_u16_e32 v25, 33, v21
	v_sub_u16_e32 v25, v20, v25
	v_mov_b32_e32 v27, 6
	v_mul_u32_u24_sdwa v27, v25, v27 dst_sel:DWORD dst_unused:UNUSED_PAD src0_sel:BYTE_0 src1_sel:DWORD
	v_lshlrev_b32_e32 v27, 3, v27
	global_load_dwordx4 v[38:41], v27, s[4:5] offset:256
	global_load_dwordx4 v[42:45], v27, s[4:5] offset:240
	;; [unrolled: 1-line block ×3, first 2 shown]
	s_waitcnt lgkmcnt(3)
	v_mov_b32_e32 v50, v35
	v_mov_b32_e32 v51, v34
	s_waitcnt lgkmcnt(2)
	v_mov_b32_e32 v52, v33
	v_mov_b32_e32 v53, v32
	v_mov_b32_e32 v54, v29
	v_mov_b32_e32 v56, v17
	s_waitcnt lgkmcnt(1)
	v_mov_b32_e32 v58, v31
	s_waitcnt lgkmcnt(0)
	v_mov_b32_e32 v60, v19
	s_mov_b32 s6, 0x3f08b237
	s_mov_b32 s14, 0x3d64c772
	;; [unrolled: 1-line block ×10, first 2 shown]
	v_mov_b32_e32 v27, 3
	v_mul_u32_u24_e32 v21, 0x738, v21
	v_lshlrev_b32_sdwa v25, v27, v25 dst_sel:DWORD dst_unused:UNUSED_PAD src0_sel:DWORD src1_sel:BYTE_0
	v_add3_u32 v21, 0, v21, v25
	s_barrier
	s_mov_b32 s10, 0xbf5ff5aa
	s_mov_b32 s12, 0x3f3bfb3b
	s_waitcnt vmcnt(2)
	v_pk_mul_f32 v[64:65], v[38:39], v[50:51]
	v_mov_b32_e32 v62, v39
	v_mov_b32_e32 v64, v41
	v_pk_mul_f32 v[66:67], v[40:41], v[52:53]
	s_waitcnt vmcnt(1)
	v_pk_mul_f32 v[68:69], v[42:43], v[28:29] op_sel_hi:[1,0]
	v_pk_mul_f32 v[70:71], v[44:45], v[16:17] op_sel_hi:[1,0]
	s_waitcnt vmcnt(0)
	v_pk_mul_f32 v[72:73], v[46:47], v[30:31] op_sel_hi:[1,0]
	v_pk_mul_f32 v[76:77], v[48:49], v[18:19] op_sel_hi:[1,0]
	;; [unrolled: 1-line block ×4, first 2 shown]
	v_pk_mul_f32 v[62:63], v[62:63], v[50:51]
	v_mov_b32_e32 v66, v65
	v_pk_mul_f32 v[64:65], v[64:65], v[52:53]
	v_pk_fma_f32 v[54:55], v[42:43], v[54:55], v[68:69] op_sel:[0,0,1] op_sel_hi:[1,1,0] neg_lo:[0,0,1] neg_hi:[0,0,1]
	v_pk_fma_f32 v[28:29], v[42:43], v[28:29], v[68:69] op_sel:[0,1,1] op_sel_hi:[1,1,0]
	v_pk_fma_f32 v[42:43], v[44:45], v[56:57], v[70:71] op_sel:[0,0,1] op_sel_hi:[1,1,0] neg_lo:[0,0,1] neg_hi:[0,0,1]
	v_pk_fma_f32 v[16:17], v[44:45], v[16:17], v[70:71] op_sel:[0,1,1] op_sel_hi:[1,1,0]
	;; [unrolled: 2-line block ×4, first 2 shown]
	v_mov_b32_e32 v74, v67
	v_mov_b32_e32 v55, v29
	;; [unrolled: 1-line block ×9, first 2 shown]
	v_pk_fma_f32 v[38:39], v[38:39], v[50:51], v[66:67] neg_lo:[0,0,1] neg_hi:[0,0,1]
	v_pk_fma_f32 v[40:41], v[40:41], v[52:53], v[74:75] neg_lo:[0,0,1] neg_hi:[0,0,1]
	v_pk_add_f32 v[16:17], v[54:55], v[46:47]
	v_pk_add_f32 v[28:29], v[42:43], v[44:45]
	;; [unrolled: 1-line block ×4, first 2 shown]
	v_pk_add_f32 v[30:31], v[42:43], v[44:45] neg_lo:[0,1] neg_hi:[0,1]
	v_mov_b32_e32 v43, v38
	v_mov_b32_e32 v45, v40
	v_mov_b32_e32 v41, v32
	v_mov_b32_e32 v39, v34
	v_mov_b32_e32 v42, v29
	v_mov_b32_e32 v44, v17
	v_pk_add_f32 v[18:19], v[54:55], v[46:47] neg_lo:[0,1] neg_hi:[0,1]
	v_pk_add_f32 v[54:55], v[34:35], v[32:33]
	v_pk_add_f32 v[38:39], v[40:41], v[38:39] neg_lo:[0,1] neg_hi:[0,1]
	v_pk_add_f32 v[40:41], v[42:43], v[44:45]
	v_mov_b32_e32 v47, v19
	v_mov_b32_e32 v48, v30
	;; [unrolled: 1-line block ×11, first 2 shown]
	v_pk_add_f32 v[42:43], v[46:47], v[48:49] neg_lo:[0,1] neg_hi:[0,1]
	v_pk_add_f32 v[44:45], v[50:51], v[52:53] neg_lo:[0,1] neg_hi:[0,1]
	;; [unrolled: 1-line block ×3, first 2 shown]
	v_mov_b32_e32 v50, v17
	v_mov_b32_e32 v51, v41
	;; [unrolled: 1-line block ×3, first 2 shown]
	v_pk_add_f32 v[40:41], v[40:41], v[54:55]
	v_pk_add_f32 v[38:39], v[38:39], v[30:31]
	v_pk_mul_f32 v[42:43], v[42:43], s[6:7]
	v_pk_add_f32 v[50:51], v[50:51], v[34:35] neg_lo:[0,1] neg_hi:[0,1]
	v_pk_add_f32 v[14:15], v[40:41], v[14:15]
	v_pk_mul_f32 v[46:47], v[46:47], s[14:15]
	v_pk_add_f32 v[38:39], v[38:39], v[18:19]
	v_pk_mul_f32 v[48:49], v[44:45], s[8:9]
	v_pk_mul_f32 v[52:53], v[50:51], s[18:19]
	v_pk_fma_f32 v[40:41], v[40:41], s[16:17], v[14:15] op_sel_hi:[1,0,1]
	v_pk_fma_f32 v[50:51], v[50:51], s[18:19], v[46:47]
	v_pk_fma_f32 v[44:45], v[44:45], s[8:9], v[42:43]
	v_pk_add_f32 v[50:51], v[50:51], v[40:41]
	v_pk_fma_f32 v[44:45], v[38:39], s[2:3], v[44:45] op_sel_hi:[1,0,1]
	v_mov_b32_e32 v34, v29
	v_pk_add_f32 v[54:55], v[50:51], v[44:45]
	v_pk_add_f32 v[44:45], v[50:51], v[44:45] neg_lo:[0,1] neg_hi:[0,1]
	v_mov_b32_e32 v50, v54
	v_mov_b32_e32 v51, v45
	;; [unrolled: 1-line block ×3, first 2 shown]
	ds_write2_b64 v21, v[14:15], v[50:51] offset1:33
	v_pk_add_f32 v[14:15], v[30:31], v[18:19] neg_lo:[0,1] neg_hi:[0,1]
	v_pk_add_f32 v[16:17], v[34:35], v[32:33] neg_lo:[0,1] neg_hi:[0,1]
	v_mov_b32_e32 v18, v52
	v_mov_b32_e32 v19, v47
	;; [unrolled: 1-line block ×6, first 2 shown]
	v_pk_fma_f32 v[18:19], v[16:17], s[12:13], v[18:19] op_sel_hi:[1,0,1] neg_lo:[1,0,1] neg_hi:[1,0,1]
	v_pk_fma_f32 v[28:29], v[14:15], s[10:11], v[28:29] op_sel_hi:[1,0,1] neg_lo:[1,0,1] neg_hi:[1,0,1]
	;; [unrolled: 1-line block ×4, first 2 shown]
	v_pk_add_f32 v[18:19], v[18:19], v[40:41]
	v_pk_fma_f32 v[28:29], v[38:39], s[2:3], v[28:29] op_sel_hi:[1,0,1]
	v_pk_add_f32 v[16:17], v[16:17], v[40:41]
	v_pk_fma_f32 v[14:15], v[38:39], s[2:3], v[14:15] op_sel_hi:[1,0,1]
	v_pk_add_f32 v[30:31], v[18:19], v[28:29]
	v_pk_add_f32 v[18:19], v[18:19], v[28:29] neg_lo:[0,1] neg_hi:[0,1]
	v_pk_add_f32 v[32:33], v[16:17], v[14:15] neg_lo:[0,1] neg_hi:[0,1]
	v_pk_add_f32 v[14:15], v[16:17], v[14:15]
	v_mov_b32_e32 v28, v30
	v_mov_b32_e32 v29, v19
	;; [unrolled: 1-line block ×7, first 2 shown]
	ds_write2_b64 v21, v[28:29], v[16:17] offset0:66 offset1:99
	ds_write2_b64 v21, v[14:15], v[18:19] offset0:132 offset1:165
	ds_write_b64 v21, v[44:45] offset:1584
	s_and_saveexec_b64 s[20:21], vcc
	s_cbranch_execz .LBB0_23
; %bb.22:
	s_mov_b32 s3, 0xf83f
	v_mul_u32_u24_sdwa v14, v26, s3 dst_sel:DWORD dst_unused:UNUSED_PAD src0_sel:WORD_0 src1_sel:DWORD
	v_lshrrev_b32_e32 v14, 21, v14
	v_mul_lo_u16_e32 v14, 33, v14
	v_sub_u16_e32 v21, v26, v14
	v_mul_u32_u24_e32 v14, 6, v21
	v_lshlrev_b32_e32 v18, 3, v14
	global_load_dwordx4 v[14:17], v18, s[4:5] offset:240
	global_load_dwordx4 v[28:31], v18, s[4:5] offset:272
	;; [unrolled: 1-line block ×3, first 2 shown]
	v_mov_b32_e32 v18, v11
	v_mov_b32_e32 v19, v10
	v_mov_b32_e32 v38, v9
	v_mov_b32_e32 v40, v9
	v_mov_b32_e32 v42, v13
	v_mov_b32_e32 v44, v3
	v_mov_b32_e32 v46, v7
	v_mov_b32_e32 v48, v7
	v_mov_b32_e32 v50, v1
	v_lshl_add_u32 v21, v21, 3, 0
	v_add_u32_e32 v25, 0x3000, v21
	s_waitcnt vmcnt(2)
	v_pk_mul_f32 v[8:9], v[8:9], v[14:15] op_sel_hi:[0,1]
	s_waitcnt vmcnt(1)
	v_pk_mul_f32 v[12:13], v[12:13], v[30:31] op_sel_hi:[0,1]
	s_waitcnt vmcnt(0)
	v_mov_b32_e32 v52, v35
	v_pk_mul_f32 v[6:7], v[6:7], v[16:17] op_sel_hi:[0,1]
	v_pk_mul_f32 v[0:1], v[0:1], v[28:29] op_sel_hi:[0,1]
	v_pk_mul_f32 v[10:11], v[10:11], v[34:35]
	v_pk_mul_f32 v[54:55], v[2:3], v[32:33]
	v_pk_mul_f32 v[44:45], v[44:45], v[32:33] op_sel:[0,1] op_sel_hi:[1,0]
	v_pk_mul_f32 v[56:57], v[2:3], v[32:33] op_sel:[0,1] op_sel_hi:[1,0]
	v_pk_mul_f32 v[58:59], v[18:19], v[34:35]
	v_pk_mul_f32 v[52:53], v[18:19], v[52:53]
	v_pk_fma_f32 v[60:61], v[42:43], v[30:31], v[12:13] op_sel:[0,0,1] op_sel_hi:[0,1,0] neg_lo:[0,0,1] neg_hi:[0,0,1]
	v_pk_fma_f32 v[12:13], v[42:43], v[30:31], v[12:13] op_sel:[0,0,1] op_sel_hi:[0,1,0]
	v_pk_fma_f32 v[30:31], v[38:39], v[14:15], v[8:9] op_sel:[0,0,1] op_sel_hi:[1,1,0] neg_lo:[0,0,1] neg_hi:[0,0,1]
	v_pk_fma_f32 v[8:9], v[40:41], v[14:15], v[8:9] op_sel:[0,0,1] op_sel_hi:[0,1,0]
	;; [unrolled: 2-line block ×4, first 2 shown]
	v_mov_b32_e32 v56, v57
	v_mov_b32_e32 v58, v59
	;; [unrolled: 1-line block ×10, first 2 shown]
	v_pk_fma_f32 v[2:3], v[2:3], v[32:33], v[56:57] op_sel:[0,1,0] op_sel_hi:[1,0,1] neg_lo:[1,0,0] neg_hi:[1,0,0]
	v_pk_fma_f32 v[16:17], v[18:19], v[34:35], v[58:59] neg_lo:[0,0,1] neg_hi:[0,0,1]
	v_pk_add_f32 v[0:1], v[30:31], v[60:61]
	v_pk_add_f32 v[6:7], v[28:29], v[14:15]
	v_pk_add_f32 v[12:13], v[28:29], v[14:15] neg_lo:[0,1] neg_hi:[0,1]
	v_pk_add_f32 v[10:11], v[10:11], v[52:53]
	v_pk_add_f32 v[14:15], v[54:55], v[44:45]
	v_mov_b32_e32 v19, v2
	v_mov_b32_e32 v29, v16
	;; [unrolled: 1-line block ×6, first 2 shown]
	v_pk_add_f32 v[8:9], v[30:31], v[60:61] neg_lo:[0,1] neg_hi:[0,1]
	v_pk_add_f32 v[38:39], v[14:15], v[10:11]
	v_pk_add_f32 v[2:3], v[16:17], v[2:3] neg_lo:[0,1] neg_hi:[0,1]
	v_pk_add_f32 v[16:17], v[18:19], v[28:29]
	v_mov_b32_e32 v33, v13
	v_pk_add_f32 v[40:41], v[12:13], v[8:9] neg_lo:[0,1] neg_hi:[0,1]
	v_mov_b32_e32 v32, v2
	v_pk_add_f32 v[18:19], v[2:3], v[12:13]
	v_mov_b32_e32 v34, v2
	v_mov_b32_e32 v2, v12
	v_pk_add_f32 v[12:13], v[16:17], v[38:39]
	v_mov_b32_e32 v16, v1
	v_mov_b32_e32 v39, v15
	;; [unrolled: 1-line block ×4, first 2 shown]
	v_pk_add_f32 v[8:9], v[18:19], v[8:9]
	v_pk_add_f32 v[18:19], v[16:17], v[38:39] neg_lo:[0,1] neg_hi:[0,1]
	v_mov_b32_e32 v39, v11
	v_mov_b32_e32 v16, v7
	v_mov_b32_e32 v31, v3
	v_pk_add_f32 v[2:3], v[34:35], v[2:3] neg_lo:[0,1] neg_hi:[0,1]
	v_pk_add_f32 v[16:17], v[38:39], v[16:17] neg_lo:[0,1] neg_hi:[0,1]
	;; [unrolled: 1-line block ×3, first 2 shown]
	v_pk_add_f32 v[4:5], v[4:5], v[12:13]
	v_pk_mul_f32 v[2:3], v[2:3], s[6:7]
	v_pk_mul_f32 v[16:17], v[16:17], s[14:15]
	;; [unrolled: 1-line block ×4, first 2 shown]
	v_pk_fma_f32 v[12:13], v[12:13], s[16:17], v[4:5] op_sel_hi:[1,0,1]
	v_pk_fma_f32 v[28:29], v[28:29], s[8:9], v[2:3]
	v_pk_fma_f32 v[18:19], v[18:19], s[18:19], v[16:17]
	v_pk_fma_f32 v[28:29], v[8:9], s[2:3], v[28:29] op_sel_hi:[1,0,1]
	v_pk_add_f32 v[18:19], v[18:19], v[12:13]
	v_mov_b32_e32 v14, v7
	v_pk_add_f32 v[38:39], v[18:19], v[28:29]
	v_pk_add_f32 v[18:19], v[18:19], v[28:29] neg_lo:[0,1] neg_hi:[0,1]
	v_mov_b32_e32 v10, v1
	v_mov_b32_e32 v34, v30
	v_mov_b32_e32 v28, v38
	v_mov_b32_e32 v29, v19
	v_mov_b32_e32 v35, v3
	v_pk_add_f32 v[0:1], v[14:15], v[10:11] neg_lo:[0,1] neg_hi:[0,1]
	v_mov_b32_e32 v6, v32
	v_mov_b32_e32 v7, v17
	;; [unrolled: 1-line block ×4, first 2 shown]
	ds_write2_b64 v25, v[4:5], v[28:29] offset0:81 offset1:114
	v_pk_fma_f32 v[4:5], v[40:41], s[10:11], v[34:35] op_sel_hi:[1,0,1] neg_lo:[1,0,1] neg_hi:[1,0,1]
	v_pk_fma_f32 v[6:7], v[0:1], s[12:13], v[6:7] op_sel_hi:[1,0,1] neg_lo:[1,0,1] neg_hi:[1,0,1]
	;; [unrolled: 1-line block ×4, first 2 shown]
	v_pk_fma_f32 v[4:5], v[8:9], s[2:3], v[4:5] op_sel_hi:[1,0,1]
	v_pk_add_f32 v[6:7], v[6:7], v[12:13]
	v_pk_fma_f32 v[2:3], v[8:9], s[2:3], v[2:3] op_sel_hi:[1,0,1]
	v_pk_add_f32 v[0:1], v[0:1], v[12:13]
	v_pk_add_f32 v[10:11], v[6:7], v[4:5]
	v_pk_add_f32 v[4:5], v[6:7], v[4:5] neg_lo:[0,1] neg_hi:[0,1]
	v_pk_add_f32 v[8:9], v[0:1], v[2:3] neg_lo:[0,1] neg_hi:[0,1]
	v_pk_add_f32 v[0:1], v[0:1], v[2:3]
	v_mov_b32_e32 v6, v10
	v_mov_b32_e32 v7, v5
	;; [unrolled: 1-line block ×7, first 2 shown]
	ds_write2_b64 v25, v[6:7], v[2:3] offset0:147 offset1:180
	ds_write2_b64 v25, v[0:1], v[4:5] offset0:213 offset1:246
	ds_write_b64 v21, v[18:19] offset:14520
.LBB0_23:
	s_or_b64 exec, exec, s[20:21]
	v_mul_u32_u24_e32 v0, 3, v20
	v_lshlrev_b32_e32 v6, 3, v0
	s_waitcnt lgkmcnt(0)
	s_barrier
	global_load_dwordx4 v[0:3], v6, s[4:5] offset:1824
	global_load_dwordx2 v[4:5], v6, s[4:5] offset:1840
	v_lshl_add_u32 v6, v24, 3, 0
	v_add_u32_e32 v7, 0x1500, v75
	v_add_u32_e32 v37, 0x2400, v75
	ds_read_b64 v[16:17], v75
	ds_read_b64 v[18:19], v36
	v_add_u32_e32 v25, 0x3000, v75
	ds_read_b64 v[28:29], v6
	ds_read2_b64 v[8:11], v7 offset0:21 offset1:252
	ds_read2_b64 v[12:15], v37 offset0:3 offset1:234
	ds_read2_b32 v[30:31], v25 offset0:162 offset1:163
	v_mov_b32_e32 v21, 0
	s_movk_i32 s3, 0x1000
	v_lshl_add_u64 v[32:33], v[20:21], 3, s[4:5]
	v_add_co_u32_e32 v40, vcc, s3, v32
	s_waitcnt lgkmcnt(0)
	v_mov_b32_e32 v42, v31
	s_movk_i32 s2, 0x3000
	v_add_u32_e32 v56, 0xe00, v75
	v_add_u32_e32 v58, 0x2b00, v75
	v_addc_co_u32_e32 v41, vcc, 0, v33, vcc
	v_add_u32_e32 v57, 0x1c80, v75
	v_mov_b32_e32 v25, v21
	s_barrier
	v_lshl_add_u64 v[38:39], v[24:25], 3, s[4:5]
	v_mov_b32_e32 v27, v21
	v_lshl_add_u64 v[34:35], v[26:27], 3, s[4:5]
	s_waitcnt vmcnt(1)
	v_pk_mul_f32 v[44:45], v[0:1], v[28:29] op_sel:[0,1]
	v_pk_mul_f32 v[46:47], v[2:3], v[10:11] op_sel:[0,1]
	s_waitcnt vmcnt(0)
	v_pk_mul_f32 v[48:49], v[4:5], v[14:15] op_sel:[0,1]
	v_pk_mul_f32 v[50:51], v[0:1], v[8:9] op_sel:[0,1]
	;; [unrolled: 1-line block ×3, first 2 shown]
	v_pk_mul_f32 v[42:43], v[42:43], v[4:5] op_sel_hi:[0,1]
	v_pk_fma_f32 v[54:55], v[0:1], v[28:29], v[44:45] op_sel:[0,0,1] op_sel_hi:[1,1,0]
	v_pk_fma_f32 v[28:29], v[0:1], v[28:29], v[44:45] op_sel:[0,0,1] op_sel_hi:[1,0,0] neg_lo:[1,0,0] neg_hi:[1,0,0]
	v_pk_fma_f32 v[44:45], v[2:3], v[10:11], v[46:47] op_sel:[0,0,1] op_sel_hi:[1,1,0]
	v_pk_fma_f32 v[10:11], v[2:3], v[10:11], v[46:47] op_sel:[0,0,1] op_sel_hi:[1,0,0] neg_lo:[1,0,0] neg_hi:[1,0,0]
	v_pk_fma_f32 v[46:47], v[4:5], v[14:15], v[48:49] op_sel:[0,0,1] op_sel_hi:[1,1,0]
	v_pk_fma_f32 v[14:15], v[4:5], v[14:15], v[48:49] op_sel:[0,0,1] op_sel_hi:[1,0,0] neg_lo:[1,0,0] neg_hi:[1,0,0]
	v_pk_fma_f32 v[48:49], v[0:1], v[8:9], v[50:51] op_sel:[0,0,1] op_sel_hi:[1,1,0]
	v_pk_fma_f32 v[0:1], v[0:1], v[8:9], v[50:51] op_sel:[0,0,1] op_sel_hi:[1,0,0] neg_lo:[1,0,0] neg_hi:[1,0,0]
	v_pk_fma_f32 v[8:9], v[2:3], v[12:13], v[52:53] op_sel:[0,0,1] op_sel_hi:[1,1,0]
	v_pk_fma_f32 v[2:3], v[2:3], v[12:13], v[52:53] op_sel:[0,0,1] op_sel_hi:[1,0,0] neg_lo:[1,0,0] neg_hi:[1,0,0]
	v_pk_fma_f32 v[12:13], v[4:5], v[30:31], v[42:43] op_sel:[0,0,1] op_sel_hi:[1,1,0]
	v_pk_fma_f32 v[4:5], v[4:5], v[30:31], v[42:43] op_sel:[0,0,1] op_sel_hi:[1,0,0] neg_lo:[1,0,0] neg_hi:[1,0,0]
	v_mov_b32_e32 v55, v29
	v_mov_b32_e32 v45, v11
	;; [unrolled: 1-line block ×6, first 2 shown]
	v_pk_add_f32 v[0:1], v[16:17], v[44:45] neg_lo:[0,1] neg_hi:[0,1]
	v_pk_add_f32 v[2:3], v[54:55], v[46:47] neg_lo:[0,1] neg_hi:[0,1]
	;; [unrolled: 1-line block ×4, first 2 shown]
	v_pk_fma_f32 v[12:13], v[54:55], 2.0, v[2:3] op_sel_hi:[1,0,1] neg_lo:[0,0,1] neg_hi:[0,0,1]
	v_pk_add_f32 v[14:15], v[0:1], v[2:3] op_sel:[0,1] op_sel_hi:[1,0]
	v_pk_add_f32 v[2:3], v[0:1], v[2:3] op_sel:[0,1] op_sel_hi:[1,0] neg_lo:[0,1] neg_hi:[0,1]
	v_pk_fma_f32 v[10:11], v[16:17], 2.0, v[0:1] op_sel_hi:[1,0,1] neg_lo:[0,0,1] neg_hi:[0,0,1]
	v_pk_fma_f32 v[16:17], v[18:19], 2.0, v[4:5] op_sel_hi:[1,0,1] neg_lo:[0,0,1] neg_hi:[0,0,1]
	v_pk_fma_f32 v[18:19], v[48:49], 2.0, v[8:9] op_sel_hi:[1,0,1] neg_lo:[0,0,1] neg_hi:[0,0,1]
	v_pk_add_f32 v[28:29], v[4:5], v[8:9] op_sel:[0,1] op_sel_hi:[1,0]
	v_pk_add_f32 v[8:9], v[4:5], v[8:9] op_sel:[0,1] op_sel_hi:[1,0] neg_lo:[0,1] neg_hi:[0,1]
	v_mov_b32_e32 v15, v3
	v_pk_add_f32 v[12:13], v[10:11], v[12:13] neg_lo:[0,1] neg_hi:[0,1]
	v_pk_add_f32 v[2:3], v[16:17], v[18:19] neg_lo:[0,1] neg_hi:[0,1]
	v_mov_b32_e32 v29, v9
	v_pk_fma_f32 v[0:1], v[0:1], 2.0, v[14:15] op_sel_hi:[1,0,1] neg_lo:[0,0,1] neg_hi:[0,0,1]
	v_pk_fma_f32 v[8:9], v[10:11], 2.0, v[12:13] op_sel_hi:[1,0,1] neg_lo:[0,0,1] neg_hi:[0,0,1]
	;; [unrolled: 1-line block ×3, first 2 shown]
	ds_write2_b64 v56, v[12:13], v[14:15] offset0:14 offset1:245
	v_pk_fma_f32 v[4:5], v[4:5], 2.0, v[28:29] op_sel_hi:[1,0,1] neg_lo:[0,0,1] neg_hi:[0,0,1]
	ds_write2_b64 v58, v[2:3], v[28:29] offset0:10 offset1:241
	ds_write2_b64 v75, v[8:9], v[0:1] offset1:231
	ds_write2_b64 v57, v[10:11], v[4:5] offset0:12 offset1:243
	v_add_co_u32_e32 v0, vcc, s2, v32
	s_waitcnt lgkmcnt(0)
	s_nop 0
	v_addc_co_u32_e32 v1, vcc, 0, v33, vcc
	v_add_co_u32_e32 v2, vcc, s3, v38
	s_barrier
	s_nop 0
	v_addc_co_u32_e32 v3, vcc, 0, v39, vcc
	v_add_co_u32_e32 v4, vcc, s3, v34
	s_nop 1
	v_addc_co_u32_e32 v5, vcc, 0, v35, vcc
	global_load_dwordx2 v[12:13], v[40:41], off offset:3272
	global_load_dwordx2 v[14:15], v[0:1], off offset:624
	;; [unrolled: 1-line block ×4, first 2 shown]
	ds_read2_b64 v[0:3], v7 offset0:21 offset1:252
	ds_read_b64 v[4:5], v75 offset:12936
	ds_read_b64 v[28:29], v75
	ds_read_b64 v[30:31], v36
	ds_read2_b64 v[8:11], v37 offset0:3 offset1:234
	ds_read_b64 v[32:33], v6
	s_waitcnt lgkmcnt(0)
	s_barrier
	s_add_u32 s2, s4, 0x39a8
	s_addc_u32 s3, s5, 0
	v_cmp_ne_u32_e32 vcc, 0, v20
	s_waitcnt vmcnt(3)
	v_pk_mul_f32 v[34:35], v[12:13], v[2:3] op_sel:[0,1]
	s_waitcnt vmcnt(2)
	v_pk_mul_f32 v[38:39], v[14:15], v[4:5] op_sel:[0,1]
	s_waitcnt vmcnt(1)
	v_pk_mul_f32 v[40:41], v[16:17], v[10:11] op_sel:[0,1]
	s_waitcnt vmcnt(0)
	v_pk_mul_f32 v[42:43], v[18:19], v[8:9] op_sel:[0,1]
	v_pk_fma_f32 v[44:45], v[12:13], v[2:3], v[34:35] op_sel:[0,0,1] op_sel_hi:[1,1,0]
	v_pk_fma_f32 v[2:3], v[12:13], v[2:3], v[34:35] op_sel:[0,0,1] op_sel_hi:[1,0,0] neg_lo:[1,0,0] neg_hi:[1,0,0]
	v_pk_fma_f32 v[12:13], v[14:15], v[4:5], v[38:39] op_sel:[0,0,1] op_sel_hi:[1,1,0]
	v_pk_fma_f32 v[4:5], v[14:15], v[4:5], v[38:39] op_sel:[0,0,1] op_sel_hi:[1,0,0] neg_lo:[1,0,0] neg_hi:[1,0,0]
	;; [unrolled: 2-line block ×4, first 2 shown]
	v_mov_b32_e32 v45, v3
	v_mov_b32_e32 v13, v5
	;; [unrolled: 1-line block ×4, first 2 shown]
	v_pk_add_f32 v[2:3], v[28:29], v[44:45] neg_lo:[0,1] neg_hi:[0,1]
	v_pk_add_f32 v[4:5], v[0:1], v[12:13] neg_lo:[0,1] neg_hi:[0,1]
	;; [unrolled: 1-line block ×4, first 2 shown]
	v_pk_fma_f32 v[12:13], v[28:29], 2.0, v[2:3] op_sel_hi:[1,0,1] neg_lo:[0,0,1] neg_hi:[0,0,1]
	v_pk_fma_f32 v[0:1], v[0:1], 2.0, v[4:5] op_sel_hi:[1,0,1] neg_lo:[0,0,1] neg_hi:[0,0,1]
	;; [unrolled: 1-line block ×4, first 2 shown]
	ds_write_b64 v75, v[2:3] offset:7392
	ds_write_b64 v75, v[12:13]
	ds_write_b64 v36, v[16:17]
	ds_write_b64 v36, v[10:11] offset:7392
	ds_write_b64 v6, v[14:15]
	ds_write_b64 v6, v[8:9] offset:7392
	ds_write_b64 v75, v[0:1] offset:5544
	;; [unrolled: 1-line block ×3, first 2 shown]
	s_waitcnt lgkmcnt(0)
	s_barrier
	ds_read_b64 v[4:5], v75
	v_lshlrev_b32_e32 v0, 3, v20
	v_sub_u32_e32 v7, 0, v0
                                        ; implicit-def: $vgpr3
                                        ; implicit-def: $vgpr0_vgpr1
	s_and_saveexec_b64 s[4:5], vcc
	s_xor_b64 s[4:5], exec, s[4:5]
	s_cbranch_execz .LBB0_25
; %bb.24:
	v_lshl_add_u64 v[0:1], v[20:21], 3, s[2:3]
	global_load_dwordx2 v[0:1], v[0:1], off
	ds_read_b64 v[2:3], v7 offset:14784
	v_mov_b32_e32 v9, 0.5
	v_mov_b32_e32 v10, v9
	s_waitcnt lgkmcnt(0)
	v_pk_add_f32 v[12:13], v[2:3], v[4:5]
	v_pk_add_f32 v[2:3], v[4:5], v[2:3] neg_lo:[0,1] neg_hi:[0,1]
	v_mov_b32_e32 v4, v13
	v_mov_b32_e32 v5, v2
	v_pk_mul_f32 v[4:5], v[4:5], 0.5 op_sel_hi:[1,0]
	s_waitcnt vmcnt(0)
	v_mov_b32_e32 v8, v1
	v_mov_b32_e32 v2, v5
	;; [unrolled: 1-line block ×4, first 2 shown]
	v_pk_mul_f32 v[2:3], v[8:9], v[2:3]
	v_pk_mul_f32 v[14:15], v[0:1], v[4:5] op_sel_hi:[0,1]
	v_pk_fma_f32 v[8:9], v[12:13], v[10:11], v[2:3]
	v_pk_fma_f32 v[10:11], v[12:13], v[10:11], v[2:3] neg_lo:[0,0,1] neg_hi:[0,0,1]
	v_pk_fma_f32 v[2:3], v[0:1], v[4:5], v[8:9] op_sel_hi:[0,1,1] neg_lo:[1,0,0] neg_hi:[1,0,0]
	v_pk_fma_f32 v[0:1], v[0:1], v[4:5], v[10:11] op_sel_hi:[0,1,1] neg_lo:[1,0,0] neg_hi:[1,0,0]
	v_add_f32_e32 v2, v8, v14
                                        ; implicit-def: $vgpr4_vgpr5
.LBB0_25:
	s_andn2_saveexec_b64 s[4:5], s[4:5]
	s_cbranch_execz .LBB0_27
; %bb.26:
	s_waitcnt lgkmcnt(0)
	v_mov_b32_e32 v0, v5
	v_pk_add_f32 v[0:1], v[4:5], v[0:1] neg_lo:[0,1] neg_hi:[0,1]
	v_add_f32_e32 v2, v5, v4
	v_mov_b32_e32 v1, 0
	ds_read_b32 v3, v1 offset:7396
	s_waitcnt lgkmcnt(0)
	v_xor_b32_e32 v3, 0x80000000, v3
	ds_write_b32 v1, v3 offset:7396
	v_mov_b32_e32 v3, v1
.LBB0_27:
	s_or_b64 exec, exec, s[4:5]
	s_waitcnt lgkmcnt(0)
	v_lshl_add_u64 v[4:5], v[26:27], 3, s[2:3]
	global_load_dwordx2 v[4:5], v[4:5], off
	v_lshl_add_u64 v[8:9], v[24:25], 3, s[2:3]
	global_load_dwordx2 v[8:9], v[8:9], off
	v_add_u32_e32 v10, 0x2b5, v20
	v_mov_b32_e32 v11, 0
	v_lshl_add_u64 v[10:11], v[10:11], 3, s[2:3]
	global_load_dwordx2 v[10:11], v[10:11], off
	ds_write_b64 v75, v[2:3]
	ds_write_b64 v7, v[0:1] offset:14784
	ds_read_b64 v[0:1], v36
	ds_read_b64 v[2:3], v7 offset:12936
	v_mov_b32_e32 v13, 0.5
	v_mov_b32_e32 v14, v13
	s_waitcnt lgkmcnt(0)
	v_pk_add_f32 v[16:17], v[0:1], v[2:3]
	v_pk_add_f32 v[0:1], v[0:1], v[2:3] neg_lo:[0,1] neg_hi:[0,1]
	v_mov_b32_e32 v2, v17
	v_mov_b32_e32 v3, v0
	v_pk_mul_f32 v[2:3], v[2:3], 0.5 op_sel_hi:[1,0]
	s_waitcnt vmcnt(2)
	v_mov_b32_e32 v15, v5
	v_mov_b32_e32 v17, v2
	;; [unrolled: 1-line block ×4, first 2 shown]
	v_pk_mul_f32 v[14:15], v[16:17], v[14:15]
	s_nop 0
	v_pk_fma_f32 v[16:17], v[12:13], v[0:1], v[14:15] neg_lo:[1,0,0] neg_hi:[1,0,0]
	v_pk_fma_f32 v[0:1], v[12:13], v[0:1], v[14:15]
	v_pk_fma_f32 v[14:15], v[4:5], v[2:3], v[16:17] op_sel_hi:[0,1,1] neg_lo:[1,0,0] neg_hi:[1,0,0]
	v_pk_fma_f32 v[16:17], v[4:5], v[2:3], v[0:1] op_sel_hi:[0,1,1]
	v_pk_fma_f32 v[0:1], v[4:5], v[2:3], v[0:1] op_sel_hi:[0,1,1] neg_lo:[1,0,0] neg_hi:[1,0,0]
	v_mov_b32_e32 v17, v1
	ds_write_b64 v36, v[16:17]
	ds_write_b64 v7, v[14:15] offset:12936
	ds_read_b64 v[0:1], v6
	ds_read_b64 v[2:3], v7 offset:11088
	v_mov_b32_e32 v4, v13
	s_waitcnt vmcnt(1)
	v_mov_b32_e32 v5, v9
	v_mov_b32_e32 v12, v9
	s_waitcnt lgkmcnt(0)
	v_pk_add_f32 v[14:15], v[0:1], v[2:3]
	v_pk_add_f32 v[0:1], v[0:1], v[2:3] neg_lo:[0,1] neg_hi:[0,1]
	v_mov_b32_e32 v2, v15
	v_mov_b32_e32 v3, v0
	v_pk_mul_f32 v[2:3], v[2:3], 0.5 op_sel_hi:[1,0]
	s_nop 0
	v_mov_b32_e32 v15, v2
	v_mov_b32_e32 v0, v3
	v_pk_mul_f32 v[4:5], v[14:15], v[4:5]
	s_nop 0
	v_pk_fma_f32 v[14:15], v[12:13], v[0:1], v[4:5] neg_lo:[1,0,0] neg_hi:[1,0,0]
	v_pk_fma_f32 v[0:1], v[12:13], v[0:1], v[4:5]
	v_pk_fma_f32 v[4:5], v[8:9], v[2:3], v[14:15] op_sel_hi:[0,1,1] neg_lo:[1,0,0] neg_hi:[1,0,0]
	v_pk_fma_f32 v[14:15], v[8:9], v[2:3], v[0:1] op_sel_hi:[0,1,1]
	v_pk_fma_f32 v[0:1], v[8:9], v[2:3], v[0:1] op_sel_hi:[0,1,1] neg_lo:[1,0,0] neg_hi:[1,0,0]
	v_mov_b32_e32 v15, v1
	ds_write_b64 v6, v[14:15]
	ds_write_b64 v7, v[4:5] offset:11088
	ds_read_b64 v[0:1], v75 offset:5544
	ds_read_b64 v[2:3], v7 offset:9240
	v_mov_b32_e32 v4, v13
	s_waitcnt vmcnt(0)
	v_mov_b32_e32 v5, v11
	v_mov_b32_e32 v12, v11
	s_waitcnt lgkmcnt(0)
	v_pk_add_f32 v[8:9], v[0:1], v[2:3]
	v_pk_add_f32 v[0:1], v[0:1], v[2:3] neg_lo:[0,1] neg_hi:[0,1]
	v_mov_b32_e32 v2, v9
	v_mov_b32_e32 v3, v0
	v_pk_mul_f32 v[2:3], v[2:3], 0.5 op_sel_hi:[1,0]
	s_nop 0
	v_mov_b32_e32 v9, v2
	v_mov_b32_e32 v0, v3
	v_pk_mul_f32 v[4:5], v[8:9], v[4:5]
	s_nop 0
	v_pk_fma_f32 v[8:9], v[12:13], v[0:1], v[4:5] neg_lo:[1,0,0] neg_hi:[1,0,0]
	v_pk_fma_f32 v[0:1], v[12:13], v[0:1], v[4:5]
	v_pk_fma_f32 v[4:5], v[10:11], v[2:3], v[8:9] op_sel_hi:[0,1,1] neg_lo:[1,0,0] neg_hi:[1,0,0]
	v_pk_fma_f32 v[8:9], v[10:11], v[2:3], v[0:1] op_sel_hi:[0,1,1]
	v_pk_fma_f32 v[0:1], v[10:11], v[2:3], v[0:1] op_sel_hi:[0,1,1] neg_lo:[1,0,0] neg_hi:[1,0,0]
	v_mov_b32_e32 v9, v1
	ds_write_b64 v75, v[8:9] offset:5544
	ds_write_b64 v7, v[4:5] offset:9240
	s_waitcnt lgkmcnt(0)
	s_barrier
	s_and_saveexec_b64 s[2:3], s[0:1]
	s_cbranch_execz .LBB0_30
; %bb.28:
	ds_read2_b64 v[0:3], v75 offset1:231
	v_add_u32_e32 v4, 0xe00, v75
	ds_read2_b64 v[4:7], v4 offset0:14 offset1:245
	v_lshl_add_u64 v[8:9], v[20:21], 3, v[22:23]
	s_movk_i32 s0, 0xe6
	s_waitcnt lgkmcnt(1)
	global_store_dwordx2 v[8:9], v[0:1], off
	global_store_dwordx2 v[8:9], v[2:3], off offset:1848
	s_waitcnt lgkmcnt(0)
	global_store_dwordx2 v[8:9], v[4:5], off offset:3696
	v_add_u32_e32 v0, 0x1c80, v75
	ds_read2_b64 v[0:3], v0 offset0:12 offset1:243
	v_add_co_u32_e32 v4, vcc, 0x1000, v8
	s_nop 1
	v_addc_co_u32_e32 v5, vcc, 0, v9, vcc
	global_store_dwordx2 v[4:5], v[6:7], off offset:1448
	s_waitcnt lgkmcnt(0)
	global_store_dwordx2 v[4:5], v[0:1], off offset:3296
	v_add_u32_e32 v1, 0x2b00, v75
	ds_read2_b64 v[4:7], v1 offset0:10 offset1:241
	v_add_co_u32_e32 v0, vcc, 0x2000, v8
	s_nop 1
	v_addc_co_u32_e32 v1, vcc, 0, v9, vcc
	global_store_dwordx2 v[0:1], v[2:3], off offset:1048
	s_waitcnt lgkmcnt(0)
	global_store_dwordx2 v[0:1], v[4:5], off offset:2896
	v_add_co_u32_e32 v0, vcc, 0x3000, v8
	s_nop 1
	v_addc_co_u32_e32 v1, vcc, 0, v9, vcc
	v_cmp_eq_u32_e32 vcc, s0, v20
	global_store_dwordx2 v[0:1], v[6:7], off offset:648
	s_and_b64 exec, exec, vcc
	s_cbranch_execz .LBB0_30
; %bb.29:
	v_mov_b32_e32 v0, 0
	ds_read_b64 v[0:1], v0 offset:14784
	v_add_co_u32_e32 v2, vcc, 0x3000, v22
	s_nop 1
	v_addc_co_u32_e32 v3, vcc, 0, v23, vcc
	s_waitcnt lgkmcnt(0)
	global_store_dwordx2 v[2:3], v[0:1], off offset:2496
.LBB0_30:
	s_endpgm
	.section	.rodata,"a",@progbits
	.p2align	6, 0x0
	.amdhsa_kernel fft_rtc_back_len1848_factors_3_11_7_4_2_wgs_231_tpt_231_halfLds_sp_ip_CI_unitstride_sbrr_R2C_dirReg
		.amdhsa_group_segment_fixed_size 0
		.amdhsa_private_segment_fixed_size 0
		.amdhsa_kernarg_size 88
		.amdhsa_user_sgpr_count 2
		.amdhsa_user_sgpr_dispatch_ptr 0
		.amdhsa_user_sgpr_queue_ptr 0
		.amdhsa_user_sgpr_kernarg_segment_ptr 1
		.amdhsa_user_sgpr_dispatch_id 0
		.amdhsa_user_sgpr_kernarg_preload_length 0
		.amdhsa_user_sgpr_kernarg_preload_offset 0
		.amdhsa_user_sgpr_private_segment_size 0
		.amdhsa_uses_dynamic_stack 0
		.amdhsa_enable_private_segment 0
		.amdhsa_system_sgpr_workgroup_id_x 1
		.amdhsa_system_sgpr_workgroup_id_y 0
		.amdhsa_system_sgpr_workgroup_id_z 0
		.amdhsa_system_sgpr_workgroup_info 0
		.amdhsa_system_vgpr_workitem_id 0
		.amdhsa_next_free_vgpr 160
		.amdhsa_next_free_sgpr 36
		.amdhsa_accum_offset 160
		.amdhsa_reserve_vcc 1
		.amdhsa_float_round_mode_32 0
		.amdhsa_float_round_mode_16_64 0
		.amdhsa_float_denorm_mode_32 3
		.amdhsa_float_denorm_mode_16_64 3
		.amdhsa_dx10_clamp 1
		.amdhsa_ieee_mode 1
		.amdhsa_fp16_overflow 0
		.amdhsa_tg_split 0
		.amdhsa_exception_fp_ieee_invalid_op 0
		.amdhsa_exception_fp_denorm_src 0
		.amdhsa_exception_fp_ieee_div_zero 0
		.amdhsa_exception_fp_ieee_overflow 0
		.amdhsa_exception_fp_ieee_underflow 0
		.amdhsa_exception_fp_ieee_inexact 0
		.amdhsa_exception_int_div_zero 0
	.end_amdhsa_kernel
	.text
.Lfunc_end0:
	.size	fft_rtc_back_len1848_factors_3_11_7_4_2_wgs_231_tpt_231_halfLds_sp_ip_CI_unitstride_sbrr_R2C_dirReg, .Lfunc_end0-fft_rtc_back_len1848_factors_3_11_7_4_2_wgs_231_tpt_231_halfLds_sp_ip_CI_unitstride_sbrr_R2C_dirReg
                                        ; -- End function
	.section	.AMDGPU.csdata,"",@progbits
; Kernel info:
; codeLenInByte = 8544
; NumSgprs: 42
; NumVgprs: 160
; NumAgprs: 0
; TotalNumVgprs: 160
; ScratchSize: 0
; MemoryBound: 0
; FloatMode: 240
; IeeeMode: 1
; LDSByteSize: 0 bytes/workgroup (compile time only)
; SGPRBlocks: 5
; VGPRBlocks: 19
; NumSGPRsForWavesPerEU: 42
; NumVGPRsForWavesPerEU: 160
; AccumOffset: 160
; Occupancy: 3
; WaveLimiterHint : 1
; COMPUTE_PGM_RSRC2:SCRATCH_EN: 0
; COMPUTE_PGM_RSRC2:USER_SGPR: 2
; COMPUTE_PGM_RSRC2:TRAP_HANDLER: 0
; COMPUTE_PGM_RSRC2:TGID_X_EN: 1
; COMPUTE_PGM_RSRC2:TGID_Y_EN: 0
; COMPUTE_PGM_RSRC2:TGID_Z_EN: 0
; COMPUTE_PGM_RSRC2:TIDIG_COMP_CNT: 0
; COMPUTE_PGM_RSRC3_GFX90A:ACCUM_OFFSET: 39
; COMPUTE_PGM_RSRC3_GFX90A:TG_SPLIT: 0
	.text
	.p2alignl 6, 3212836864
	.fill 256, 4, 3212836864
	.type	__hip_cuid_5aa6caf93a79fe89,@object ; @__hip_cuid_5aa6caf93a79fe89
	.section	.bss,"aw",@nobits
	.globl	__hip_cuid_5aa6caf93a79fe89
__hip_cuid_5aa6caf93a79fe89:
	.byte	0                               ; 0x0
	.size	__hip_cuid_5aa6caf93a79fe89, 1

	.ident	"AMD clang version 19.0.0git (https://github.com/RadeonOpenCompute/llvm-project roc-6.4.0 25133 c7fe45cf4b819c5991fe208aaa96edf142730f1d)"
	.section	".note.GNU-stack","",@progbits
	.addrsig
	.addrsig_sym __hip_cuid_5aa6caf93a79fe89
	.amdgpu_metadata
---
amdhsa.kernels:
  - .agpr_count:     0
    .args:
      - .actual_access:  read_only
        .address_space:  global
        .offset:         0
        .size:           8
        .value_kind:     global_buffer
      - .offset:         8
        .size:           8
        .value_kind:     by_value
      - .actual_access:  read_only
        .address_space:  global
        .offset:         16
        .size:           8
        .value_kind:     global_buffer
      - .actual_access:  read_only
        .address_space:  global
        .offset:         24
        .size:           8
        .value_kind:     global_buffer
      - .offset:         32
        .size:           8
        .value_kind:     by_value
      - .actual_access:  read_only
        .address_space:  global
        .offset:         40
        .size:           8
        .value_kind:     global_buffer
      - .actual_access:  read_only
        .address_space:  global
        .offset:         48
        .size:           8
        .value_kind:     global_buffer
      - .offset:         56
        .size:           4
        .value_kind:     by_value
      - .actual_access:  read_only
        .address_space:  global
        .offset:         64
        .size:           8
        .value_kind:     global_buffer
      - .actual_access:  read_only
        .address_space:  global
        .offset:         72
        .size:           8
        .value_kind:     global_buffer
      - .address_space:  global
        .offset:         80
        .size:           8
        .value_kind:     global_buffer
    .group_segment_fixed_size: 0
    .kernarg_segment_align: 8
    .kernarg_segment_size: 88
    .language:       OpenCL C
    .language_version:
      - 2
      - 0
    .max_flat_workgroup_size: 231
    .name:           fft_rtc_back_len1848_factors_3_11_7_4_2_wgs_231_tpt_231_halfLds_sp_ip_CI_unitstride_sbrr_R2C_dirReg
    .private_segment_fixed_size: 0
    .sgpr_count:     42
    .sgpr_spill_count: 0
    .symbol:         fft_rtc_back_len1848_factors_3_11_7_4_2_wgs_231_tpt_231_halfLds_sp_ip_CI_unitstride_sbrr_R2C_dirReg.kd
    .uniform_work_group_size: 1
    .uses_dynamic_stack: false
    .vgpr_count:     160
    .vgpr_spill_count: 0
    .wavefront_size: 64
amdhsa.target:   amdgcn-amd-amdhsa--gfx950
amdhsa.version:
  - 1
  - 2
...

	.end_amdgpu_metadata
